;; amdgpu-corpus repo=ROCm/rocFFT kind=compiled arch=gfx906 opt=O3
	.text
	.amdgcn_target "amdgcn-amd-amdhsa--gfx906"
	.amdhsa_code_object_version 6
	.protected	fft_rtc_fwd_len3888_factors_16_3_3_3_3_3_wgs_324_tpt_324_halfLds_half_ip_CI_unitstride_sbrr_dirReg ; -- Begin function fft_rtc_fwd_len3888_factors_16_3_3_3_3_3_wgs_324_tpt_324_halfLds_half_ip_CI_unitstride_sbrr_dirReg
	.globl	fft_rtc_fwd_len3888_factors_16_3_3_3_3_3_wgs_324_tpt_324_halfLds_half_ip_CI_unitstride_sbrr_dirReg
	.p2align	8
	.type	fft_rtc_fwd_len3888_factors_16_3_3_3_3_3_wgs_324_tpt_324_halfLds_half_ip_CI_unitstride_sbrr_dirReg,@function
fft_rtc_fwd_len3888_factors_16_3_3_3_3_3_wgs_324_tpt_324_halfLds_half_ip_CI_unitstride_sbrr_dirReg: ; @fft_rtc_fwd_len3888_factors_16_3_3_3_3_3_wgs_324_tpt_324_halfLds_half_ip_CI_unitstride_sbrr_dirReg
; %bb.0:
	s_load_dwordx2 s[12:13], s[4:5], 0x50
	s_load_dwordx4 s[8:11], s[4:5], 0x0
	s_load_dwordx2 s[2:3], s[4:5], 0x18
	v_mul_u32_u24_e32 v1, 0x195, v0
	v_lshrrev_b32_e32 v1, 17, v1
	v_add_u32_e32 v5, s6, v1
	s_waitcnt lgkmcnt(0)
	v_cmp_lt_u64_e64 s[0:1], s[10:11], 2
	v_mov_b32_e32 v3, 0
	v_mov_b32_e32 v1, 0
	;; [unrolled: 1-line block ×3, first 2 shown]
	s_and_b64 vcc, exec, s[0:1]
	v_mov_b32_e32 v2, 0
	s_cbranch_vccnz .LBB0_8
; %bb.1:
	s_load_dwordx2 s[0:1], s[4:5], 0x10
	s_add_u32 s6, s2, 8
	s_addc_u32 s7, s3, 0
	v_mov_b32_e32 v1, 0
	v_mov_b32_e32 v2, 0
	s_waitcnt lgkmcnt(0)
	s_add_u32 s14, s0, 8
	s_addc_u32 s15, s1, 0
	s_mov_b64 s[16:17], 1
.LBB0_2:                                ; =>This Inner Loop Header: Depth=1
	s_load_dwordx2 s[18:19], s[14:15], 0x0
                                        ; implicit-def: $vgpr7_vgpr8
	s_waitcnt lgkmcnt(0)
	v_or_b32_e32 v4, s19, v6
	v_cmp_ne_u64_e32 vcc, 0, v[3:4]
	s_and_saveexec_b64 s[0:1], vcc
	s_xor_b64 s[20:21], exec, s[0:1]
	s_cbranch_execz .LBB0_4
; %bb.3:                                ;   in Loop: Header=BB0_2 Depth=1
	v_cvt_f32_u32_e32 v4, s18
	v_cvt_f32_u32_e32 v7, s19
	s_sub_u32 s0, 0, s18
	s_subb_u32 s1, 0, s19
	v_mac_f32_e32 v4, 0x4f800000, v7
	v_rcp_f32_e32 v4, v4
	v_mul_f32_e32 v4, 0x5f7ffffc, v4
	v_mul_f32_e32 v7, 0x2f800000, v4
	v_trunc_f32_e32 v7, v7
	v_mac_f32_e32 v4, 0xcf800000, v7
	v_cvt_u32_f32_e32 v7, v7
	v_cvt_u32_f32_e32 v4, v4
	v_mul_lo_u32 v8, s0, v7
	v_mul_hi_u32 v9, s0, v4
	v_mul_lo_u32 v11, s1, v4
	v_mul_lo_u32 v10, s0, v4
	v_add_u32_e32 v8, v9, v8
	v_add_u32_e32 v8, v8, v11
	v_mul_hi_u32 v9, v4, v10
	v_mul_lo_u32 v11, v4, v8
	v_mul_hi_u32 v13, v4, v8
	v_mul_hi_u32 v12, v7, v10
	v_mul_lo_u32 v10, v7, v10
	v_mul_hi_u32 v14, v7, v8
	v_add_co_u32_e32 v9, vcc, v9, v11
	v_addc_co_u32_e32 v11, vcc, 0, v13, vcc
	v_mul_lo_u32 v8, v7, v8
	v_add_co_u32_e32 v9, vcc, v9, v10
	v_addc_co_u32_e32 v9, vcc, v11, v12, vcc
	v_addc_co_u32_e32 v10, vcc, 0, v14, vcc
	v_add_co_u32_e32 v8, vcc, v9, v8
	v_addc_co_u32_e32 v9, vcc, 0, v10, vcc
	v_add_co_u32_e32 v4, vcc, v4, v8
	v_addc_co_u32_e32 v7, vcc, v7, v9, vcc
	v_mul_lo_u32 v8, s0, v7
	v_mul_hi_u32 v9, s0, v4
	v_mul_lo_u32 v10, s1, v4
	v_mul_lo_u32 v11, s0, v4
	v_add_u32_e32 v8, v9, v8
	v_add_u32_e32 v8, v8, v10
	v_mul_lo_u32 v12, v4, v8
	v_mul_hi_u32 v13, v4, v11
	v_mul_hi_u32 v14, v4, v8
	;; [unrolled: 1-line block ×3, first 2 shown]
	v_mul_lo_u32 v11, v7, v11
	v_mul_hi_u32 v9, v7, v8
	v_add_co_u32_e32 v12, vcc, v13, v12
	v_addc_co_u32_e32 v13, vcc, 0, v14, vcc
	v_mul_lo_u32 v8, v7, v8
	v_add_co_u32_e32 v11, vcc, v12, v11
	v_addc_co_u32_e32 v10, vcc, v13, v10, vcc
	v_addc_co_u32_e32 v9, vcc, 0, v9, vcc
	v_add_co_u32_e32 v8, vcc, v10, v8
	v_addc_co_u32_e32 v9, vcc, 0, v9, vcc
	v_add_co_u32_e32 v4, vcc, v4, v8
	v_addc_co_u32_e32 v9, vcc, v7, v9, vcc
	v_mad_u64_u32 v[7:8], s[0:1], v5, v9, 0
	v_mul_hi_u32 v10, v5, v4
	v_add_co_u32_e32 v11, vcc, v10, v7
	v_addc_co_u32_e32 v12, vcc, 0, v8, vcc
	v_mad_u64_u32 v[7:8], s[0:1], v6, v4, 0
	v_mad_u64_u32 v[9:10], s[0:1], v6, v9, 0
	v_add_co_u32_e32 v4, vcc, v11, v7
	v_addc_co_u32_e32 v4, vcc, v12, v8, vcc
	v_addc_co_u32_e32 v7, vcc, 0, v10, vcc
	v_add_co_u32_e32 v4, vcc, v4, v9
	v_addc_co_u32_e32 v9, vcc, 0, v7, vcc
	v_mul_lo_u32 v10, s19, v4
	v_mul_lo_u32 v11, s18, v9
	v_mad_u64_u32 v[7:8], s[0:1], s18, v4, 0
	v_add3_u32 v8, v8, v11, v10
	v_sub_u32_e32 v10, v6, v8
	v_mov_b32_e32 v11, s19
	v_sub_co_u32_e32 v7, vcc, v5, v7
	v_subb_co_u32_e64 v10, s[0:1], v10, v11, vcc
	v_subrev_co_u32_e64 v11, s[0:1], s18, v7
	v_subbrev_co_u32_e64 v10, s[0:1], 0, v10, s[0:1]
	v_cmp_le_u32_e64 s[0:1], s19, v10
	v_cndmask_b32_e64 v12, 0, -1, s[0:1]
	v_cmp_le_u32_e64 s[0:1], s18, v11
	v_cndmask_b32_e64 v11, 0, -1, s[0:1]
	v_cmp_eq_u32_e64 s[0:1], s19, v10
	v_cndmask_b32_e64 v10, v12, v11, s[0:1]
	v_add_co_u32_e64 v11, s[0:1], 2, v4
	v_addc_co_u32_e64 v12, s[0:1], 0, v9, s[0:1]
	v_add_co_u32_e64 v13, s[0:1], 1, v4
	v_addc_co_u32_e64 v14, s[0:1], 0, v9, s[0:1]
	v_subb_co_u32_e32 v8, vcc, v6, v8, vcc
	v_cmp_ne_u32_e64 s[0:1], 0, v10
	v_cmp_le_u32_e32 vcc, s19, v8
	v_cndmask_b32_e64 v10, v14, v12, s[0:1]
	v_cndmask_b32_e64 v12, 0, -1, vcc
	v_cmp_le_u32_e32 vcc, s18, v7
	v_cndmask_b32_e64 v7, 0, -1, vcc
	v_cmp_eq_u32_e32 vcc, s19, v8
	v_cndmask_b32_e32 v7, v12, v7, vcc
	v_cmp_ne_u32_e32 vcc, 0, v7
	v_cndmask_b32_e64 v7, v13, v11, s[0:1]
	v_cndmask_b32_e32 v8, v9, v10, vcc
	v_cndmask_b32_e32 v7, v4, v7, vcc
.LBB0_4:                                ;   in Loop: Header=BB0_2 Depth=1
	s_andn2_saveexec_b64 s[0:1], s[20:21]
	s_cbranch_execz .LBB0_6
; %bb.5:                                ;   in Loop: Header=BB0_2 Depth=1
	v_cvt_f32_u32_e32 v4, s18
	s_sub_i32 s20, 0, s18
	v_rcp_iflag_f32_e32 v4, v4
	v_mul_f32_e32 v4, 0x4f7ffffe, v4
	v_cvt_u32_f32_e32 v4, v4
	v_mul_lo_u32 v7, s20, v4
	v_mul_hi_u32 v7, v4, v7
	v_add_u32_e32 v4, v4, v7
	v_mul_hi_u32 v4, v5, v4
	v_mul_lo_u32 v7, v4, s18
	v_add_u32_e32 v8, 1, v4
	v_sub_u32_e32 v7, v5, v7
	v_subrev_u32_e32 v9, s18, v7
	v_cmp_le_u32_e32 vcc, s18, v7
	v_cndmask_b32_e32 v7, v7, v9, vcc
	v_cndmask_b32_e32 v4, v4, v8, vcc
	v_add_u32_e32 v8, 1, v4
	v_cmp_le_u32_e32 vcc, s18, v7
	v_cndmask_b32_e32 v7, v4, v8, vcc
	v_mov_b32_e32 v8, v3
.LBB0_6:                                ;   in Loop: Header=BB0_2 Depth=1
	s_or_b64 exec, exec, s[0:1]
	v_mul_lo_u32 v4, v8, s18
	v_mul_lo_u32 v11, v7, s19
	v_mad_u64_u32 v[9:10], s[0:1], v7, s18, 0
	s_load_dwordx2 s[0:1], s[6:7], 0x0
	s_add_u32 s16, s16, 1
	v_add3_u32 v4, v10, v11, v4
	v_sub_co_u32_e32 v5, vcc, v5, v9
	v_subb_co_u32_e32 v4, vcc, v6, v4, vcc
	s_waitcnt lgkmcnt(0)
	v_mul_lo_u32 v4, s0, v4
	v_mul_lo_u32 v6, s1, v5
	v_mad_u64_u32 v[1:2], s[0:1], s0, v5, v[1:2]
	s_addc_u32 s17, s17, 0
	s_add_u32 s6, s6, 8
	v_add3_u32 v2, v6, v2, v4
	v_mov_b32_e32 v4, s10
	v_mov_b32_e32 v5, s11
	s_addc_u32 s7, s7, 0
	v_cmp_ge_u64_e32 vcc, s[16:17], v[4:5]
	s_add_u32 s14, s14, 8
	s_addc_u32 s15, s15, 0
	s_cbranch_vccnz .LBB0_9
; %bb.7:                                ;   in Loop: Header=BB0_2 Depth=1
	v_mov_b32_e32 v5, v7
	v_mov_b32_e32 v6, v8
	s_branch .LBB0_2
.LBB0_8:
	v_mov_b32_e32 v8, v6
	v_mov_b32_e32 v7, v5
.LBB0_9:
	s_lshl_b64 s[0:1], s[10:11], 3
	s_add_u32 s0, s2, s0
	s_addc_u32 s1, s3, s1
	s_load_dwordx2 s[2:3], s[0:1], 0x0
	s_load_dwordx2 s[6:7], s[4:5], 0x20
	v_mul_hi_u32_u24_e32 v5, 0xca4588, v0
	v_mul_u32_u24_e32 v5, 0x144, v5
	v_sub_u32_e32 v0, v0, v5
	s_waitcnt lgkmcnt(0)
	v_mul_lo_u32 v3, s2, v8
	v_mul_lo_u32 v4, s3, v7
	v_mad_u64_u32 v[1:2], s[0:1], s2, v7, v[1:2]
	v_cmp_gt_u64_e64 s[0:1], s[6:7], v[7:8]
	s_movk_i32 s2, 0xf3
	v_add3_u32 v2, v4, v2, v3
	v_cmp_gt_u32_e64 s[2:3], s2, v0
	v_lshlrev_b64 v[2:3], 2, v[1:2]
	s_and_b64 s[6:7], s[0:1], s[2:3]
	v_mov_b32_e32 v4, 0
	v_mov_b32_e32 v1, 0
	;; [unrolled: 1-line block ×16, first 2 shown]
                                        ; implicit-def: $vgpr6
                                        ; implicit-def: $vgpr11
                                        ; implicit-def: $vgpr31
                                        ; implicit-def: $vgpr20
                                        ; implicit-def: $vgpr27
                                        ; implicit-def: $vgpr25
                                        ; implicit-def: $vgpr29
                                        ; implicit-def: $vgpr18
                                        ; implicit-def: $vgpr10
                                        ; implicit-def: $vgpr8
                                        ; implicit-def: $vgpr33
                                        ; implicit-def: $vgpr24
                                        ; implicit-def: $vgpr34
                                        ; implicit-def: $vgpr30
                                        ; implicit-def: $vgpr32
                                        ; implicit-def: $vgpr26
	s_and_saveexec_b64 s[4:5], s[6:7]
	s_cbranch_execz .LBB0_11
; %bb.10:
	v_mov_b32_e32 v1, 0
	v_mov_b32_e32 v4, s13
	v_add_co_u32_e32 v6, vcc, s12, v2
	v_addc_co_u32_e32 v7, vcc, v4, v3, vcc
	v_lshlrev_b64 v[4:5], 2, v[0:1]
	s_movk_i32 s6, 0x1000
	v_add_co_u32_e32 v4, vcc, v6, v4
	v_addc_co_u32_e32 v5, vcc, v7, v5, vcc
	v_add_co_u32_e32 v21, vcc, s6, v4
	v_addc_co_u32_e32 v22, vcc, 0, v5, vcc
	s_movk_i32 s6, 0x2000
	v_add_co_u32_e32 v27, vcc, s6, v4
	v_addc_co_u32_e32 v28, vcc, 0, v5, vcc
	global_load_dword v1, v[4:5], off
	global_load_dword v13, v[4:5], off offset:972
	global_load_dword v9, v[4:5], off offset:1944
	;; [unrolled: 1-line block ×7, first 2 shown]
	v_add_co_u32_e32 v4, vcc, 0x3000, v4
	v_addc_co_u32_e32 v5, vcc, 0, v5, vcc
	global_load_dword v11, v[21:22], off offset:3680
	global_load_dword v20, v[27:28], off offset:556
	;; [unrolled: 1-line block ×8, first 2 shown]
	s_waitcnt vmcnt(15)
	v_lshrrev_b32_e32 v4, 16, v1
	s_waitcnt vmcnt(14)
	v_lshrrev_b32_e32 v19, 16, v13
	;; [unrolled: 2-line block ×16, first 2 shown]
.LBB0_11:
	s_or_b64 exec, exec, s[4:5]
	v_sub_f16_e32 v25, v9, v25
	v_sub_f16_e32 v35, v23, v27
	v_fma_f16 v27, v9, 2.0, -v25
	v_fma_f16 v9, v23, 2.0, -v35
	v_sub_f16_e32 v23, v16, v30
	v_sub_f16_e32 v30, v28, v34
	;; [unrolled: 1-line block ×6, first 2 shown]
	v_fma_f16 v16, v16, 2.0, -v23
	v_fma_f16 v28, v28, 2.0, -v30
	v_fma_f16 v13, v13, 2.0, -v34
	v_fma_f16 v19, v19, 2.0, -v31
	v_fma_f16 v36, v14, 2.0, -v24
	v_fma_f16 v22, v22, 2.0, -v33
	v_sub_f16_e32 v29, v17, v29
	v_sub_f16_e32 v32, v21, v32
	v_add_f16_e32 v23, v35, v23
	v_sub_f16_e32 v18, v12, v18
	v_fma_f16 v17, v17, 2.0, -v29
	v_sub_f16_e32 v26, v15, v26
	v_fma_f16 v21, v21, 2.0, -v32
	v_sub_f16_e32 v20, v9, v28
	v_sub_f16_e32 v28, v25, v30
	v_fma_f16 v30, v35, 2.0, -v23
	v_sub_f16_e32 v35, v13, v36
	v_sub_f16_e32 v22, v19, v22
	v_fma_f16 v37, v12, 2.0, -v18
	v_fma_f16 v15, v15, 2.0, -v26
	v_sub_f16_e32 v14, v27, v16
	v_fma_f16 v12, v13, 2.0, -v35
	v_fma_f16 v16, v19, 2.0, -v22
	v_sub_f16_e32 v13, v34, v33
	v_add_f16_e32 v19, v31, v24
	v_sub_f16_e32 v38, v17, v21
	v_sub_f16_e32 v32, v18, v32
	v_fma_f16 v24, v34, 2.0, -v13
	v_fma_f16 v36, v31, 2.0, -v19
	v_sub_f16_e32 v15, v37, v15
	v_fma_f16 v17, v17, 2.0, -v38
	v_add_f16_e32 v26, v29, v26
	v_fma_f16 v31, v18, 2.0, -v32
	s_mov_b32 s5, 0xb9a8
	v_fma_f16 v21, v37, 2.0, -v15
	v_fma_f16 v39, v29, 2.0, -v26
	v_mul_f16_e32 v37, 0x39a8, v30
	v_sub_f16_e32 v30, v16, v17
	v_fma_f16 v17, v31, s5, v24
	v_fma_f16 v25, v25, 2.0, -v28
	s_movk_i32 s4, 0x39a8
	v_mul_f16_e32 v33, 0x39a8, v23
	v_sub_f16_e32 v18, v12, v21
	v_fma_f16 v23, v39, s5, v36
	v_fma_f16 v21, v39, s5, v17
	v_mul_f16_e32 v34, 0x39a8, v25
	v_fma_f16 v23, v31, s4, v23
	v_fma_f16 v31, v24, 2.0, -v21
	v_sub_f16_e32 v17, v35, v38
	v_add_f16_e32 v15, v22, v15
	v_fma_f16 v24, v32, s4, v13
	v_fma_f16 v25, v26, s4, v19
	v_mul_f16_e32 v29, 0x39a8, v28
	v_fma_f16 v28, v35, 2.0, -v17
	v_fma_f16 v22, v22, 2.0, -v15
	v_fma_f16 v24, v26, s5, v24
	v_fma_f16 v25, v32, s4, v25
	v_sub_f16_e32 v8, v7, v8
	v_sub_f16_e32 v10, v5, v10
	v_fma_f16 v36, v36, 2.0, -v23
	v_fma_f16 v35, v13, 2.0, -v24
	;; [unrolled: 1-line block ×3, first 2 shown]
	v_mul_f16_e32 v41, 0x39a8, v28
	v_mul_f16_e32 v42, 0x39a8, v22
	;; [unrolled: 1-line block ×4, first 2 shown]
	s_and_saveexec_b64 s[4:5], s[2:3]
	s_cbranch_execz .LBB0_13
; %bb.12:
	v_sub_f16_e32 v11, v1, v11
	v_sub_f16_e32 v13, v11, v10
	v_fma_f16 v1, v1, 2.0, -v11
	v_fma_f16 v11, v11, 2.0, -v13
	;; [unrolled: 1-line block ×3, first 2 shown]
	v_sub_f16_e32 v15, v11, v34
	v_sub_f16_e32 v7, v1, v7
	;; [unrolled: 1-line block ×3, first 2 shown]
	v_fma_f16 v1, v1, 2.0, -v7
	v_fma_f16 v17, v27, 2.0, -v14
	s_mov_b32 s7, 0xbb64
	v_sub_f16_e32 v17, v1, v17
	v_fma_f16 v11, v11, 2.0, -v15
	s_mov_b32 s6, 0xb61f
	v_fma_f16 v19, v31, s7, v11
	v_fma_f16 v1, v1, 2.0, -v17
	v_fma_f16 v12, v12, 2.0, -v18
	v_fma_f16 v19, v36, s6, v19
	v_sub_f16_e32 v12, v1, v12
	v_fma_f16 v11, v11, 2.0, -v19
	v_fma_f16 v1, v1, 2.0, -v12
	v_pack_b32_f16 v1, v1, v11
	v_add_f16_e32 v11, v13, v29
	v_sub_f16_e32 v11, v11, v33
	v_sub_f16_e32 v26, v7, v20
	v_fma_f16 v13, v13, 2.0, -v11
	v_fma_f16 v7, v7, 2.0, -v26
	v_fma_f16 v22, v35, s6, v13
	v_sub_f16_e32 v27, v7, v41
	v_fma_f16 v22, v39, s7, v22
	v_sub_f16_e32 v27, v27, v42
	v_fma_f16 v13, v13, 2.0, -v22
	v_fma_f16 v7, v7, 2.0, -v27
	v_pack_b32_f16 v7, v7, v13
	v_lshl_add_u32 v13, v0, 5, 0
	s_movk_i32 s10, 0x361f
	ds_write2_b32 v13, v1, v7 offset1:1
	v_fma_f16 v1, v21, s10, v15
	v_fma_f16 v1, v23, s7, v1
	v_fma_f16 v7, v15, 2.0, -v1
	v_sub_f16_e32 v15, v17, v30
	v_fma_f16 v17, v17, 2.0, -v15
	s_movk_i32 s7, 0x3b64
	v_pack_b32_f16 v7, v17, v7
	v_fma_f16 v17, v24, s7, v11
	v_add_f16_e32 v38, v26, v28
	v_fma_f16 v17, v25, s6, v17
	v_sub_f16_e32 v38, v38, v32
	v_fma_f16 v11, v11, 2.0, -v17
	v_fma_f16 v26, v26, 2.0, -v38
	v_pack_b32_f16 v11, v26, v11
	ds_write2_b32 v13, v7, v11 offset0:2 offset1:3
	v_pack_b32_f16 v7, v12, v19
	v_pack_b32_f16 v11, v27, v22
	ds_write2_b32 v13, v7, v11 offset0:4 offset1:5
	v_pack_b32_f16 v1, v15, v1
	v_pack_b32_f16 v7, v38, v17
	ds_write2_b32 v13, v1, v7 offset0:6 offset1:7
.LBB0_13:
	s_or_b64 exec, exec, s[4:5]
	v_lshl_add_u32 v1, v0, 1, 0
	s_waitcnt lgkmcnt(0)
	s_barrier
	ds_read_u16 v13, v1
	ds_read_u16 v12, v1 offset:648
	ds_read_u16 v11, v1 offset:1296
	;; [unrolled: 1-line block ×11, first 2 shown]
	s_waitcnt lgkmcnt(0)
	s_barrier
	s_and_saveexec_b64 s[4:5], s[2:3]
	s_cbranch_execz .LBB0_15
; %bb.14:
	v_sub_f16_e32 v6, v4, v6
	v_add_f16_e32 v8, v6, v8
	v_fma_f16 v4, v4, 2.0, -v6
	v_fma_f16 v6, v6, 2.0, -v8
	v_fma_f16 v5, v5, 2.0, -v10
	v_sub_f16_e32 v10, v6, v37
	v_sub_f16_e32 v5, v4, v5
	v_fma_f16 v9, v9, 2.0, -v20
	v_add_f16_e32 v10, v34, v10
	v_add_f16_e32 v20, v8, v33
	v_fma_f16 v4, v4, 2.0, -v5
	v_fma_f16 v6, v6, 2.0, -v10
	v_add_f16_e32 v14, v5, v14
	v_add_f16_e32 v20, v29, v20
	s_mov_b32 s2, 0xbb64
	v_sub_f16_e32 v9, v4, v9
	v_fma_f16 v5, v5, 2.0, -v14
	v_fma_f16 v8, v8, 2.0, -v20
	v_fma_f16 v29, v36, s2, v6
	s_movk_i32 s2, 0x361f
	s_mov_b32 s3, 0xb61f
	v_fma_f16 v4, v4, 2.0, -v9
	v_fma_f16 v16, v16, 2.0, -v30
	v_fma_f16 v29, v31, s2, v29
	v_sub_f16_e32 v30, v5, v42
	v_fma_f16 v31, v39, s3, v8
	s_movk_i32 s3, 0x3b64
	v_fma_f16 v23, v23, s2, v10
	v_sub_f16_e32 v16, v4, v16
	v_add_f16_e32 v30, v41, v30
	v_fma_f16 v31, v35, s3, v31
	v_fma_f16 v21, v21, s3, v23
	v_add_f16_e32 v23, v14, v32
	v_fma_f16 v25, v25, s3, v20
	v_fma_f16 v4, v4, 2.0, -v16
	v_fma_f16 v6, v6, 2.0, -v29
	;; [unrolled: 1-line block ×4, first 2 shown]
	v_add_f16_e32 v18, v9, v18
	v_add_f16_e32 v23, v28, v23
	v_fma_f16 v24, v24, s2, v25
	v_fma_f16 v9, v9, 2.0, -v18
	v_fma_f16 v10, v10, 2.0, -v21
	;; [unrolled: 1-line block ×4, first 2 shown]
	v_mad_u32_u24 v25, v0, 30, v1
	v_pack_b32_f16 v4, v4, v6
	v_pack_b32_f16 v5, v5, v8
	ds_write2_b32 v25, v4, v5 offset1:1
	v_pack_b32_f16 v4, v9, v10
	v_pack_b32_f16 v5, v14, v20
	ds_write2_b32 v25, v4, v5 offset0:2 offset1:3
	v_pack_b32_f16 v4, v16, v29
	v_pack_b32_f16 v5, v30, v31
	ds_write2_b32 v25, v4, v5 offset0:4 offset1:5
	;; [unrolled: 3-line block ×3, first 2 shown]
.LBB0_15:
	s_or_b64 exec, exec, s[4:5]
	v_add_u32_e32 v10, 0x144, v0
	v_and_b32_e32 v6, 15, v0
	v_and_b32_e32 v14, 15, v10
	v_add_u32_e32 v9, 0x288, v0
	v_lshlrev_b32_e32 v4, 3, v6
	v_lshlrev_b32_e32 v8, 3, v14
	v_and_b32_e32 v16, 15, v9
	s_waitcnt lgkmcnt(0)
	s_barrier
	global_load_dwordx2 v[4:5], v4, s[8:9]
	s_movk_i32 s2, 0x3aee
	global_load_dwordx2 v[20:21], v8, s[8:9]
	v_lshlrev_b32_e32 v8, 3, v16
	global_load_dwordx2 v[23:24], v8, s[8:9]
	v_add_u32_e32 v8, 0x3cc, v0
	v_and_b32_e32 v18, 15, v8
	v_lshlrev_b32_e32 v25, 3, v18
	global_load_dwordx2 v[28:29], v25, s[8:9]
	ds_read_u16 v25, v1
	ds_read_u16 v30, v1 offset:648
	ds_read_u16 v31, v1 offset:1296
	;; [unrolled: 1-line block ×11, first 2 shown]
	s_mov_b32 s3, 0xbaee
	s_waitcnt vmcnt(0) lgkmcnt(0)
	s_barrier
	s_mov_b32 s4, 0xaaab
	v_mul_f16_sdwa v43, v35, v4 dst_sel:DWORD dst_unused:UNUSED_PAD src0_sel:DWORD src1_sel:WORD_1
	v_mul_f16_sdwa v44, v40, v4 dst_sel:DWORD dst_unused:UNUSED_PAD src0_sel:DWORD src1_sel:WORD_1
	v_fma_f16 v40, v40, v4, -v43
	v_mul_f16_sdwa v43, v37, v5 dst_sel:DWORD dst_unused:UNUSED_PAD src0_sel:DWORD src1_sel:WORD_1
	v_fma_f16 v4, v35, v4, v44
	v_mul_f16_sdwa v35, v38, v5 dst_sel:DWORD dst_unused:UNUSED_PAD src0_sel:DWORD src1_sel:WORD_1
	v_fma_f16 v38, v38, v5, -v43
	v_fma_f16 v5, v37, v5, v35
	v_mul_f16_sdwa v35, v34, v20 dst_sel:DWORD dst_unused:UNUSED_PAD src0_sel:DWORD src1_sel:WORD_1
	v_mul_f16_sdwa v37, v26, v20 dst_sel:DWORD dst_unused:UNUSED_PAD src0_sel:DWORD src1_sel:WORD_1
	v_fma_f16 v26, v26, v20, -v35
	v_mul_f16_sdwa v35, v32, v23 dst_sel:DWORD dst_unused:UNUSED_PAD src0_sel:DWORD src1_sel:WORD_1
	v_fma_f16 v20, v34, v20, v37
	v_mul_f16_sdwa v34, v17, v23 dst_sel:DWORD dst_unused:UNUSED_PAD src0_sel:DWORD src1_sel:WORD_1
	v_mul_f16_sdwa v43, v39, v21 dst_sel:DWORD dst_unused:UNUSED_PAD src0_sel:DWORD src1_sel:WORD_1
	;; [unrolled: 1-line block ×3, first 2 shown]
	v_fma_f16 v17, v17, v23, -v35
	v_mul_f16_sdwa v35, v42, v29 dst_sel:DWORD dst_unused:UNUSED_PAD src0_sel:DWORD src1_sel:WORD_1
	v_fma_f16 v23, v32, v23, v34
	v_mul_f16_sdwa v32, v19, v29 dst_sel:DWORD dst_unused:UNUSED_PAD src0_sel:DWORD src1_sel:WORD_1
	v_fma_f16 v27, v27, v21, -v43
	v_mul_f16_sdwa v37, v41, v24 dst_sel:DWORD dst_unused:UNUSED_PAD src0_sel:DWORD src1_sel:WORD_1
	v_fma_f16 v21, v39, v21, v44
	v_mul_f16_sdwa v43, v33, v28 dst_sel:DWORD dst_unused:UNUSED_PAD src0_sel:DWORD src1_sel:WORD_1
	v_mul_f16_sdwa v44, v15, v28 dst_sel:DWORD dst_unused:UNUSED_PAD src0_sel:DWORD src1_sel:WORD_1
	v_fma_f16 v19, v19, v29, -v35
	v_fma_f16 v29, v42, v29, v32
	v_add_f16_e32 v32, v13, v40
	v_add_f16_e32 v35, v25, v4
	v_mul_f16_sdwa v39, v22, v24 dst_sel:DWORD dst_unused:UNUSED_PAD src0_sel:DWORD src1_sel:WORD_1
	v_fma_f16 v22, v22, v24, -v37
	v_fma_f16 v15, v15, v28, -v43
	v_fma_f16 v28, v33, v28, v44
	v_add_f16_e32 v33, v40, v38
	v_sub_f16_e32 v34, v4, v5
	v_add_f16_e32 v4, v4, v5
	v_sub_f16_e32 v37, v40, v38
	v_add_f16_e32 v32, v32, v38
	v_add_f16_e32 v5, v35, v5
	v_sub_f16_e32 v35, v20, v21
	v_add_f16_e32 v38, v30, v20
	v_add_f16_e32 v20, v20, v21
	v_fma_f16 v24, v41, v24, v39
	v_fma_f16 v13, v33, -0.5, v13
	v_fma_f16 v4, v4, -0.5, v25
	v_add_f16_e32 v25, v12, v26
	v_add_f16_e32 v33, v26, v27
	v_fma_f16 v20, v20, -0.5, v30
	v_sub_f16_e32 v26, v26, v27
	v_add_f16_e32 v30, v17, v22
	v_add_f16_e32 v25, v25, v27
	v_fma_f16 v12, v33, -0.5, v12
	v_fma_f16 v27, v26, s3, v20
	v_fma_f16 v20, v26, s2, v20
	v_add_f16_e32 v26, v11, v17
	v_fma_f16 v11, v30, -0.5, v11
	v_sub_f16_e32 v30, v23, v24
	v_fma_f16 v33, v35, s2, v12
	v_fma_f16 v12, v35, s3, v12
	;; [unrolled: 1-line block ×4, first 2 shown]
	v_add_f16_e32 v30, v31, v23
	v_add_f16_e32 v23, v23, v24
	;; [unrolled: 1-line block ×3, first 2 shown]
	v_fma_f16 v23, v23, -0.5, v31
	v_sub_f16_e32 v17, v17, v22
	v_add_f16_e32 v24, v15, v19
	v_add_f16_e32 v26, v26, v22
	v_fma_f16 v22, v17, s3, v23
	v_fma_f16 v17, v17, s2, v23
	v_add_f16_e32 v23, v7, v15
	v_fma_f16 v7, v24, -0.5, v7
	v_sub_f16_e32 v24, v28, v29
	v_fma_f16 v31, v24, s2, v7
	v_fma_f16 v7, v24, s3, v7
	v_add_f16_e32 v24, v36, v28
	v_add_f16_e32 v28, v28, v29
	v_fma_f16 v28, v28, -0.5, v36
	v_sub_f16_e32 v15, v15, v19
	v_add_f16_e32 v23, v23, v19
	v_fma_f16 v19, v15, s3, v28
	v_fma_f16 v15, v15, s2, v28
	v_lshrrev_b32_e32 v28, 4, v0
	v_mul_u32_u24_e32 v28, 48, v28
	v_or_b32_e32 v6, v28, v6
	v_fma_f16 v39, v34, s2, v13
	v_fma_f16 v13, v34, s3, v13
	v_lshl_add_u32 v6, v6, 1, 0
	ds_write_b16 v6, v32
	ds_write_b16 v6, v39 offset:32
	ds_write_b16 v6, v13 offset:64
	v_lshrrev_b32_e32 v13, 4, v10
	v_mul_u32_u24_e32 v13, 48, v13
	v_or_b32_e32 v13, v13, v14
	v_lshl_add_u32 v13, v13, 1, 0
	ds_write_b16 v13, v25
	ds_write_b16 v13, v33 offset:32
	ds_write_b16 v13, v12 offset:64
	v_lshrrev_b32_e32 v12, 4, v9
	v_mul_u32_u24_e32 v12, 48, v12
	v_or_b32_e32 v12, v12, v16
	;; [unrolled: 7-line block ×3, first 2 shown]
	v_fma_f16 v34, v37, s3, v4
	v_fma_f16 v4, v37, s2, v4
	v_lshl_add_u32 v11, v11, 1, 0
	v_add_f16_e32 v21, v38, v21
	v_add_f16_e32 v24, v24, v29
	ds_write_b16 v11, v23
	ds_write_b16 v11, v31 offset:32
	ds_write_b16 v11, v7 offset:64
	s_waitcnt lgkmcnt(0)
	s_barrier
	ds_read_u16 v16, v1
	ds_read_u16 v18, v1 offset:648
	ds_read_u16 v23, v1 offset:1296
	ds_read_u16 v25, v1 offset:3888
	ds_read_u16 v26, v1 offset:4536
	ds_read_u16 v28, v1 offset:3240
	ds_read_u16 v29, v1 offset:2592
	ds_read_u16 v31, v1 offset:1944
	ds_read_u16 v32, v1 offset:5184
	ds_read_u16 v33, v1 offset:5832
	ds_read_u16 v35, v1 offset:6480
	ds_read_u16 v36, v1 offset:7128
	s_waitcnt lgkmcnt(0)
	s_barrier
	ds_write_b16 v6, v5
	ds_write_b16 v6, v34 offset:32
	ds_write_b16 v6, v4 offset:64
	ds_write_b16 v13, v21
	ds_write_b16 v13, v27 offset:32
	ds_write_b16 v13, v20 offset:64
	;; [unrolled: 3-line block ×4, first 2 shown]
	v_mul_u32_u24_sdwa v4, v0, s4 dst_sel:DWORD dst_unused:UNUSED_PAD src0_sel:WORD_0 src1_sel:DWORD
	v_lshrrev_b32_e32 v15, 21, v4
	v_mul_lo_u16_e32 v4, 48, v15
	v_sub_u16_e32 v17, v0, v4
	v_lshlrev_b32_e32 v4, 3, v17
	v_mul_u32_u24_sdwa v6, v10, s4 dst_sel:DWORD dst_unused:UNUSED_PAD src0_sel:WORD_0 src1_sel:DWORD
	v_mul_u32_u24_sdwa v11, v9, s4 dst_sel:DWORD dst_unused:UNUSED_PAD src0_sel:WORD_0 src1_sel:DWORD
	s_waitcnt lgkmcnt(0)
	s_barrier
	global_load_dwordx2 v[4:5], v4, s[8:9] offset:128
	v_lshrrev_b32_e32 v19, 21, v6
	v_lshrrev_b32_e32 v21, 21, v11
	v_mul_lo_u16_e32 v6, 48, v19
	v_mul_lo_u16_e32 v11, 48, v21
	v_sub_u16_e32 v20, v10, v6
	v_sub_u16_e32 v22, v9, v11
	v_mul_u32_u24_sdwa v13, v8, s4 dst_sel:DWORD dst_unused:UNUSED_PAD src0_sel:WORD_0 src1_sel:DWORD
	v_lshlrev_b32_e32 v6, 3, v20
	global_load_dwordx2 v[6:7], v6, s[8:9] offset:128
	v_lshlrev_b32_e32 v11, 3, v22
	global_load_dwordx2 v[11:12], v11, s[8:9] offset:128
	v_lshrrev_b32_e32 v24, 21, v13
	v_mul_lo_u16_e32 v13, 48, v24
	v_sub_u16_e32 v27, v8, v13
	v_lshlrev_b32_e32 v13, 3, v27
	global_load_dwordx2 v[13:14], v13, s[8:9] offset:128
	ds_read_u16 v30, v1 offset:3888
	ds_read_u16 v34, v1 offset:4536
	;; [unrolled: 1-line block ×9, first 2 shown]
	v_lshlrev_b32_e32 v17, 1, v17
	v_lshlrev_b32_e32 v20, 1, v20
	;; [unrolled: 1-line block ×4, first 2 shown]
	s_mov_b32 s4, 0xe38f
	s_waitcnt vmcnt(3) lgkmcnt(5)
	v_mul_f16_sdwa v44, v38, v4 dst_sel:DWORD dst_unused:UNUSED_PAD src0_sel:DWORD src1_sel:WORD_1
	v_fma_f16 v44, v29, v4, -v44
	v_mul_f16_sdwa v29, v29, v4 dst_sel:DWORD dst_unused:UNUSED_PAD src0_sel:DWORD src1_sel:WORD_1
	v_fma_f16 v4, v38, v4, v29
	s_waitcnt lgkmcnt(3)
	v_mul_f16_sdwa v29, v40, v5 dst_sel:DWORD dst_unused:UNUSED_PAD src0_sel:DWORD src1_sel:WORD_1
	v_fma_f16 v29, v32, v5, -v29
	v_mul_f16_sdwa v32, v32, v5 dst_sel:DWORD dst_unused:UNUSED_PAD src0_sel:DWORD src1_sel:WORD_1
	v_fma_f16 v5, v40, v5, v32
	s_waitcnt vmcnt(2)
	v_mul_f16_sdwa v32, v37, v6 dst_sel:DWORD dst_unused:UNUSED_PAD src0_sel:DWORD src1_sel:WORD_1
	v_fma_f16 v32, v28, v6, -v32
	s_waitcnt vmcnt(1)
	v_mul_f16_sdwa v40, v30, v11 dst_sel:DWORD dst_unused:UNUSED_PAD src0_sel:DWORD src1_sel:WORD_1
	v_mul_f16_sdwa v28, v28, v6 dst_sel:DWORD dst_unused:UNUSED_PAD src0_sel:DWORD src1_sel:WORD_1
	v_fma_f16 v40, v25, v11, -v40
	v_mul_f16_sdwa v25, v25, v11 dst_sel:DWORD dst_unused:UNUSED_PAD src0_sel:DWORD src1_sel:WORD_1
	v_fma_f16 v6, v37, v6, v28
	s_waitcnt lgkmcnt(2)
	v_mul_f16_sdwa v28, v41, v7 dst_sel:DWORD dst_unused:UNUSED_PAD src0_sel:DWORD src1_sel:WORD_1
	v_fma_f16 v11, v30, v11, v25
	s_waitcnt lgkmcnt(1)
	v_mul_f16_sdwa v25, v42, v12 dst_sel:DWORD dst_unused:UNUSED_PAD src0_sel:DWORD src1_sel:WORD_1
	v_mul_f16_sdwa v30, v35, v12 dst_sel:DWORD dst_unused:UNUSED_PAD src0_sel:DWORD src1_sel:WORD_1
	v_fma_f16 v28, v33, v7, -v28
	v_mul_f16_sdwa v33, v33, v7 dst_sel:DWORD dst_unused:UNUSED_PAD src0_sel:DWORD src1_sel:WORD_1
	v_fma_f16 v25, v35, v12, -v25
	v_fma_f16 v12, v42, v12, v30
	s_waitcnt vmcnt(0)
	v_mul_f16_sdwa v30, v34, v13 dst_sel:DWORD dst_unused:UNUSED_PAD src0_sel:DWORD src1_sel:WORD_1
	v_fma_f16 v7, v41, v7, v33
	ds_read_u16 v33, v1
	ds_read_u16 v37, v1 offset:648
	ds_read_u16 v38, v1 offset:1296
	v_fma_f16 v30, v26, v13, -v30
	v_mul_f16_sdwa v26, v26, v13 dst_sel:DWORD dst_unused:UNUSED_PAD src0_sel:DWORD src1_sel:WORD_1
	v_fma_f16 v13, v34, v13, v26
	s_waitcnt lgkmcnt(3)
	v_mul_f16_sdwa v26, v43, v14 dst_sel:DWORD dst_unused:UNUSED_PAD src0_sel:DWORD src1_sel:WORD_1
	v_mul_f16_sdwa v34, v36, v14 dst_sel:DWORD dst_unused:UNUSED_PAD src0_sel:DWORD src1_sel:WORD_1
	v_add_f16_e32 v35, v44, v29
	v_fma_f16 v26, v36, v14, -v26
	v_fma_f16 v14, v43, v14, v34
	v_add_f16_e32 v34, v16, v44
	v_fma_f16 v16, v35, -0.5, v16
	v_sub_f16_e32 v35, v4, v5
	v_fma_f16 v36, v35, s2, v16
	v_fma_f16 v16, v35, s3, v16
	s_waitcnt lgkmcnt(2)
	v_add_f16_e32 v35, v33, v4
	v_add_f16_e32 v4, v4, v5
	v_add_f16_e32 v35, v35, v5
	v_fma_f16 v4, v4, -0.5, v33
	v_sub_f16_e32 v5, v44, v29
	v_add_f16_e32 v33, v32, v28
	v_add_f16_e32 v34, v34, v29
	v_fma_f16 v29, v5, s3, v4
	v_fma_f16 v4, v5, s2, v4
	v_add_f16_e32 v5, v18, v32
	v_fma_f16 v18, v33, -0.5, v18
	v_sub_f16_e32 v33, v6, v7
	v_fma_f16 v41, v33, s2, v18
	v_fma_f16 v18, v33, s3, v18
	s_waitcnt lgkmcnt(1)
	v_add_f16_e32 v33, v37, v6
	v_add_f16_e32 v6, v6, v7
	v_add_f16_e32 v33, v33, v7
	v_fma_f16 v6, v6, -0.5, v37
	v_sub_f16_e32 v7, v32, v28
	v_add_f16_e32 v32, v40, v25
	v_add_f16_e32 v5, v5, v28
	v_fma_f16 v28, v7, s3, v6
	;; [unrolled: 15-line block ×3, first 2 shown]
	v_fma_f16 v11, v12, s2, v11
	v_add_f16_e32 v12, v31, v30
	v_fma_f16 v31, v38, -0.5, v31
	v_sub_f16_e32 v38, v13, v14
	v_fma_f16 v40, v38, s2, v31
	v_fma_f16 v31, v38, s3, v31
	v_add_f16_e32 v38, v39, v13
	v_add_f16_e32 v13, v13, v14
	;; [unrolled: 1-line block ×3, first 2 shown]
	v_fma_f16 v13, v13, -0.5, v39
	v_sub_f16_e32 v14, v30, v26
	v_add_f16_e32 v12, v12, v26
	v_fma_f16 v26, v14, s3, v13
	v_fma_f16 v13, v14, s2, v13
	v_mul_u32_u24_e32 v14, 0x120, v15
	v_mul_u32_u24_e32 v15, 0x120, v19
	v_add3_u32 v14, 0, v14, v17
	v_add3_u32 v15, 0, v15, v20
	s_barrier
	ds_write_b16 v14, v34
	ds_write_b16 v14, v36 offset:96
	ds_write_b16 v14, v16 offset:192
	ds_write_b16 v15, v5
	ds_write_b16 v15, v41 offset:96
	ds_write_b16 v15, v18 offset:192
	v_mul_u32_u24_e32 v5, 0x120, v21
	v_add3_u32 v5, 0, v5, v22
	ds_write_b16 v5, v7
	ds_write_b16 v5, v37 offset:96
	ds_write_b16 v5, v23 offset:192
	v_mul_u32_u24_e32 v7, 0x120, v24
	v_add3_u32 v7, 0, v7, v27
	ds_write_b16 v7, v12
	ds_write_b16 v7, v40 offset:96
	ds_write_b16 v7, v31 offset:192
	s_waitcnt lgkmcnt(0)
	s_barrier
	ds_read_u16 v16, v1
	ds_read_u16 v17, v1 offset:648
	ds_read_u16 v18, v1 offset:1296
	;; [unrolled: 1-line block ×11, first 2 shown]
	s_waitcnt lgkmcnt(0)
	s_barrier
	ds_write_b16 v14, v35
	ds_write_b16 v14, v29 offset:96
	ds_write_b16 v14, v4 offset:192
	ds_write_b16 v15, v33
	ds_write_b16 v15, v28 offset:96
	ds_write_b16 v15, v6 offset:192
	;; [unrolled: 3-line block ×4, first 2 shown]
	v_mul_u32_u24_sdwa v4, v0, s4 dst_sel:DWORD dst_unused:UNUSED_PAD src0_sel:WORD_0 src1_sel:DWORD
	v_lshrrev_b32_e32 v15, 23, v4
	v_mul_lo_u16_e32 v4, 0x90, v15
	v_sub_u16_e32 v25, v0, v4
	v_lshlrev_b32_e32 v4, 3, v25
	v_mul_u32_u24_sdwa v6, v10, s4 dst_sel:DWORD dst_unused:UNUSED_PAD src0_sel:WORD_0 src1_sel:DWORD
	v_mul_u32_u24_sdwa v11, v9, s4 dst_sel:DWORD dst_unused:UNUSED_PAD src0_sel:WORD_0 src1_sel:DWORD
	s_waitcnt lgkmcnt(0)
	s_barrier
	global_load_dwordx2 v[4:5], v4, s[8:9] offset:512
	v_lshrrev_b32_e32 v26, 23, v6
	v_lshrrev_b32_e32 v29, 23, v11
	v_mul_lo_u16_e32 v6, 0x90, v26
	v_mul_lo_u16_e32 v11, 0x90, v29
	v_sub_u16_e32 v28, v10, v6
	v_sub_u16_e32 v32, v9, v11
	v_lshlrev_b32_e32 v6, 3, v28
	global_load_dwordx2 v[6:7], v6, s[8:9] offset:512
	v_lshlrev_b32_e32 v11, 3, v32
	global_load_dwordx2 v[11:12], v11, s[8:9] offset:512
	v_mul_u32_u24_sdwa v13, v8, s4 dst_sel:DWORD dst_unused:UNUSED_PAD src0_sel:WORD_0 src1_sel:DWORD
	v_lshrrev_b32_e32 v33, 23, v13
	v_mul_lo_u16_e32 v13, 0x90, v33
	v_sub_u16_e32 v34, v8, v13
	v_lshlrev_b32_e32 v13, 3, v34
	global_load_dwordx2 v[13:14], v13, s[8:9] offset:512
	ds_read_u16 v35, v1 offset:3888
	ds_read_u16 v36, v1 offset:4536
	;; [unrolled: 1-line block ×9, first 2 shown]
	v_lshlrev_b32_e32 v25, 1, v25
	v_lshlrev_b32_e32 v28, 1, v28
	v_lshlrev_b32_e32 v32, 1, v32
	s_movk_i32 s4, 0x6c
	s_waitcnt vmcnt(3) lgkmcnt(5)
	v_mul_f16_sdwa v44, v38, v4 dst_sel:DWORD dst_unused:UNUSED_PAD src0_sel:DWORD src1_sel:WORD_1
	v_fma_f16 v44, v22, v4, -v44
	v_mul_f16_sdwa v22, v22, v4 dst_sel:DWORD dst_unused:UNUSED_PAD src0_sel:DWORD src1_sel:WORD_1
	v_fma_f16 v4, v38, v4, v22
	s_waitcnt lgkmcnt(3)
	v_mul_f16_sdwa v22, v40, v5 dst_sel:DWORD dst_unused:UNUSED_PAD src0_sel:DWORD src1_sel:WORD_1
	v_fma_f16 v22, v24, v5, -v22
	v_mul_f16_sdwa v24, v24, v5 dst_sel:DWORD dst_unused:UNUSED_PAD src0_sel:DWORD src1_sel:WORD_1
	v_fma_f16 v5, v40, v5, v24
	s_waitcnt vmcnt(2)
	v_mul_f16_sdwa v24, v37, v6 dst_sel:DWORD dst_unused:UNUSED_PAD src0_sel:DWORD src1_sel:WORD_1
	v_fma_f16 v24, v21, v6, -v24
	s_waitcnt vmcnt(1)
	v_mul_f16_sdwa v40, v35, v11 dst_sel:DWORD dst_unused:UNUSED_PAD src0_sel:DWORD src1_sel:WORD_1
	v_fma_f16 v40, v19, v11, -v40
	v_mul_f16_sdwa v19, v19, v11 dst_sel:DWORD dst_unused:UNUSED_PAD src0_sel:DWORD src1_sel:WORD_1
	v_fma_f16 v11, v35, v11, v19
	s_waitcnt lgkmcnt(1)
	v_mul_f16_sdwa v19, v42, v12 dst_sel:DWORD dst_unused:UNUSED_PAD src0_sel:DWORD src1_sel:WORD_1
	v_mul_f16_sdwa v21, v21, v6 dst_sel:DWORD dst_unused:UNUSED_PAD src0_sel:DWORD src1_sel:WORD_1
	v_fma_f16 v19, v30, v12, -v19
	v_mul_f16_sdwa v30, v30, v12 dst_sel:DWORD dst_unused:UNUSED_PAD src0_sel:DWORD src1_sel:WORD_1
	v_fma_f16 v6, v37, v6, v21
	v_mul_f16_sdwa v21, v41, v7 dst_sel:DWORD dst_unused:UNUSED_PAD src0_sel:DWORD src1_sel:WORD_1
	v_fma_f16 v12, v42, v12, v30
	v_lshlrev_b32_e32 v30, 1, v34
	s_waitcnt vmcnt(0)
	v_mul_f16_sdwa v34, v36, v13 dst_sel:DWORD dst_unused:UNUSED_PAD src0_sel:DWORD src1_sel:WORD_1
	v_fma_f16 v21, v27, v7, -v21
	v_mul_f16_sdwa v27, v27, v7 dst_sel:DWORD dst_unused:UNUSED_PAD src0_sel:DWORD src1_sel:WORD_1
	v_fma_f16 v34, v20, v13, -v34
	v_mul_f16_sdwa v20, v20, v13 dst_sel:DWORD dst_unused:UNUSED_PAD src0_sel:DWORD src1_sel:WORD_1
	v_fma_f16 v7, v41, v7, v27
	ds_read_u16 v27, v1
	ds_read_u16 v37, v1 offset:648
	ds_read_u16 v38, v1 offset:1296
	v_fma_f16 v13, v36, v13, v20
	s_waitcnt lgkmcnt(3)
	v_mul_f16_sdwa v20, v43, v14 dst_sel:DWORD dst_unused:UNUSED_PAD src0_sel:DWORD src1_sel:WORD_1
	v_fma_f16 v20, v31, v14, -v20
	v_mul_f16_sdwa v31, v31, v14 dst_sel:DWORD dst_unused:UNUSED_PAD src0_sel:DWORD src1_sel:WORD_1
	v_add_f16_e32 v35, v44, v22
	v_fma_f16 v14, v43, v14, v31
	v_add_f16_e32 v31, v16, v44
	v_fma_f16 v16, v35, -0.5, v16
	v_sub_f16_e32 v35, v4, v5
	v_fma_f16 v36, v35, s2, v16
	v_fma_f16 v16, v35, s3, v16
	s_waitcnt lgkmcnt(2)
	v_add_f16_e32 v35, v27, v4
	v_add_f16_e32 v4, v4, v5
	v_add_f16_e32 v35, v35, v5
	v_fma_f16 v4, v4, -0.5, v27
	v_sub_f16_e32 v5, v44, v22
	v_add_f16_e32 v27, v24, v21
	v_add_f16_e32 v31, v31, v22
	v_fma_f16 v22, v5, s3, v4
	v_fma_f16 v4, v5, s2, v4
	v_add_f16_e32 v5, v17, v24
	v_fma_f16 v17, v27, -0.5, v17
	v_sub_f16_e32 v27, v6, v7
	v_fma_f16 v41, v27, s2, v17
	v_fma_f16 v17, v27, s3, v17
	s_waitcnt lgkmcnt(1)
	v_add_f16_e32 v27, v37, v6
	v_add_f16_e32 v6, v6, v7
	v_add_f16_e32 v27, v27, v7
	v_fma_f16 v6, v6, -0.5, v37
	v_sub_f16_e32 v7, v24, v21
	v_add_f16_e32 v24, v40, v19
	v_add_f16_e32 v5, v5, v21
	v_fma_f16 v21, v7, s3, v6
	;; [unrolled: 15-line block ×3, first 2 shown]
	v_fma_f16 v11, v12, s2, v11
	v_add_f16_e32 v12, v23, v34
	v_fma_f16 v23, v38, -0.5, v23
	v_sub_f16_e32 v38, v13, v14
	v_fma_f16 v40, v38, s2, v23
	v_fma_f16 v23, v38, s3, v23
	v_add_f16_e32 v38, v39, v13
	v_add_f16_e32 v13, v13, v14
	v_add_f16_e32 v38, v38, v14
	v_fma_f16 v13, v13, -0.5, v39
	v_sub_f16_e32 v14, v34, v20
	v_add_f16_e32 v12, v12, v20
	v_fma_f16 v20, v14, s3, v13
	v_fma_f16 v13, v14, s2, v13
	v_mul_u32_u24_e32 v14, 0x360, v15
	v_mul_u32_u24_e32 v15, 0x360, v26
	v_add3_u32 v14, 0, v14, v25
	v_add3_u32 v15, 0, v15, v28
	s_barrier
	ds_write_b16 v14, v31
	ds_write_b16 v14, v36 offset:288
	ds_write_b16 v14, v16 offset:576
	ds_write_b16 v15, v5
	ds_write_b16 v15, v41 offset:288
	ds_write_b16 v15, v17 offset:576
	v_mul_u32_u24_e32 v5, 0x360, v29
	v_add3_u32 v5, 0, v5, v32
	ds_write_b16 v5, v7
	ds_write_b16 v5, v37 offset:288
	ds_write_b16 v5, v18 offset:576
	v_mul_u32_u24_e32 v7, 0x360, v33
	v_add3_u32 v7, 0, v7, v30
	ds_write_b16 v7, v12
	ds_write_b16 v7, v40 offset:288
	ds_write_b16 v7, v23 offset:576
	s_waitcnt lgkmcnt(0)
	s_barrier
	ds_read_u16 v23, v1
	ds_read_u16 v25, v1 offset:648
	ds_read_u16 v26, v1 offset:1296
	;; [unrolled: 1-line block ×11, first 2 shown]
	s_waitcnt lgkmcnt(0)
	s_barrier
	ds_write_b16 v14, v35
	ds_write_b16 v14, v22 offset:288
	ds_write_b16 v14, v4 offset:576
	ds_write_b16 v15, v27
	ds_write_b16 v15, v21 offset:288
	ds_write_b16 v15, v6 offset:576
	ds_write_b16 v5, v24
	ds_write_b16 v5, v19 offset:288
	ds_write_b16 v5, v11 offset:576
	ds_write_b16 v7, v38
	ds_write_b16 v7, v20 offset:288
	ds_write_b16 v7, v13 offset:576
	v_lshlrev_b32_e32 v4, 1, v0
	v_mov_b32_e32 v5, 0
	v_lshlrev_b64 v[6:7], 2, v[4:5]
	v_mov_b32_e32 v15, s9
	v_add_co_u32_e32 v6, vcc, s8, v6
	v_addc_co_u32_e32 v7, vcc, v15, v7, vcc
	v_add_u32_e32 v4, 0xffffff94, v0
	v_cmp_gt_u32_e32 vcc, s4, v0
	v_cndmask_b32_e32 v4, v4, v10, vcc
	v_lshlrev_b32_e32 v4, 1, v4
	v_lshlrev_b64 v[13:14], 2, v[4:5]
	s_waitcnt lgkmcnt(0)
	v_add_co_u32_e32 v13, vcc, s8, v13
	v_addc_co_u32_e32 v14, vcc, v15, v14, vcc
	v_lshrrev_b16_e32 v15, 4, v9
	v_mul_u32_u24_e32 v15, 0x12f7, v15
	v_lshrrev_b32_e32 v19, 17, v15
	s_barrier
	global_load_dwordx2 v[11:12], v[6:7], off offset:1664
	v_mul_lo_u16_e32 v15, 0x1b0, v19
	global_load_dwordx2 v[13:14], v[13:14], off offset:1664
	v_lshrrev_b16_e32 v17, 4, v8
	v_sub_u16_e32 v20, v9, v15
	v_mul_u32_u24_e32 v17, 0x12f7, v17
	v_lshlrev_b32_e32 v15, 3, v20
	v_lshrrev_b32_e32 v17, 17, v17
	global_load_dwordx2 v[15:16], v15, s[8:9] offset:1664
	v_mul_lo_u16_e32 v17, 0x1b0, v17
	v_sub_u16_e32 v21, v8, v17
	v_lshlrev_b32_e32 v17, 3, v21
	global_load_dwordx2 v[17:18], v17, s[8:9] offset:1664
	ds_read_u16 v22, v1 offset:3888
	ds_read_u16 v24, v1 offset:4536
	;; [unrolled: 1-line block ×9, first 2 shown]
	s_movk_i32 s4, 0x6b
	v_cmp_lt_u32_e32 vcc, s4, v0
	v_lshlrev_b32_e32 v20, 1, v20
	s_waitcnt vmcnt(3) lgkmcnt(5)
	v_mul_f16_sdwa v43, v35, v11 dst_sel:DWORD dst_unused:UNUSED_PAD src0_sel:DWORD src1_sel:WORD_1
	v_fma_f16 v43, v31, v11, -v43
	s_waitcnt vmcnt(2)
	v_mul_f16_sdwa v44, v27, v13 dst_sel:DWORD dst_unused:UNUSED_PAD src0_sel:DWORD src1_sel:WORD_1
	v_fma_f16 v44, v30, v13, -v44
	v_mul_f16_sdwa v30, v30, v13 dst_sel:DWORD dst_unused:UNUSED_PAD src0_sel:DWORD src1_sel:WORD_1
	v_fma_f16 v13, v27, v13, v30
	s_waitcnt lgkmcnt(2)
	v_mul_f16_sdwa v27, v40, v14 dst_sel:DWORD dst_unused:UNUSED_PAD src0_sel:DWORD src1_sel:WORD_1
	v_mul_f16_sdwa v30, v34, v14 dst_sel:DWORD dst_unused:UNUSED_PAD src0_sel:DWORD src1_sel:WORD_1
	v_fma_f16 v27, v34, v14, -v27
	v_fma_f16 v14, v40, v14, v30
	s_waitcnt vmcnt(1)
	v_mul_f16_sdwa v30, v22, v15 dst_sel:DWORD dst_unused:UNUSED_PAD src0_sel:DWORD src1_sel:WORD_1
	v_mul_f16_sdwa v31, v31, v11 dst_sel:DWORD dst_unused:UNUSED_PAD src0_sel:DWORD src1_sel:WORD_1
	v_fma_f16 v30, v28, v15, -v30
	v_mul_f16_sdwa v28, v28, v15 dst_sel:DWORD dst_unused:UNUSED_PAD src0_sel:DWORD src1_sel:WORD_1
	v_fma_f16 v11, v35, v11, v31
	v_mul_f16_sdwa v31, v39, v12 dst_sel:DWORD dst_unused:UNUSED_PAD src0_sel:DWORD src1_sel:WORD_1
	v_fma_f16 v15, v22, v15, v28
	s_waitcnt lgkmcnt(1)
	v_mul_f16_sdwa v22, v41, v16 dst_sel:DWORD dst_unused:UNUSED_PAD src0_sel:DWORD src1_sel:WORD_1
	v_mul_f16_sdwa v28, v36, v16 dst_sel:DWORD dst_unused:UNUSED_PAD src0_sel:DWORD src1_sel:WORD_1
	v_fma_f16 v31, v33, v12, -v31
	v_mul_f16_sdwa v33, v33, v12 dst_sel:DWORD dst_unused:UNUSED_PAD src0_sel:DWORD src1_sel:WORD_1
	v_fma_f16 v22, v36, v16, -v22
	v_fma_f16 v16, v41, v16, v28
	s_waitcnt vmcnt(0)
	v_mul_f16_sdwa v28, v24, v17 dst_sel:DWORD dst_unused:UNUSED_PAD src0_sel:DWORD src1_sel:WORD_1
	v_fma_f16 v12, v39, v12, v33
	ds_read_u16 v33, v1
	ds_read_u16 v35, v1 offset:648
	ds_read_u16 v39, v1 offset:1296
	v_fma_f16 v28, v29, v17, -v28
	v_mul_f16_sdwa v29, v29, v17 dst_sel:DWORD dst_unused:UNUSED_PAD src0_sel:DWORD src1_sel:WORD_1
	v_fma_f16 v17, v24, v17, v29
	s_waitcnt lgkmcnt(3)
	v_mul_f16_sdwa v24, v42, v18 dst_sel:DWORD dst_unused:UNUSED_PAD src0_sel:DWORD src1_sel:WORD_1
	v_mul_f16_sdwa v29, v37, v18 dst_sel:DWORD dst_unused:UNUSED_PAD src0_sel:DWORD src1_sel:WORD_1
	v_add_f16_e32 v34, v43, v31
	v_fma_f16 v24, v37, v18, -v24
	v_fma_f16 v18, v42, v18, v29
	v_add_f16_e32 v29, v23, v43
	v_fma_f16 v23, v34, -0.5, v23
	v_sub_f16_e32 v34, v11, v12
	v_fma_f16 v36, v34, s2, v23
	v_fma_f16 v23, v34, s3, v23
	s_waitcnt lgkmcnt(2)
	v_add_f16_e32 v34, v33, v11
	v_add_f16_e32 v11, v11, v12
	;; [unrolled: 1-line block ×3, first 2 shown]
	v_fma_f16 v11, v11, -0.5, v33
	v_sub_f16_e32 v12, v43, v31
	v_add_f16_e32 v29, v29, v31
	v_fma_f16 v31, v12, s3, v11
	v_fma_f16 v33, v12, s2, v11
	v_add_f16_e32 v12, v44, v27
	v_add_f16_e32 v11, v25, v44
	v_fma_f16 v12, v12, -0.5, v25
	v_sub_f16_e32 v25, v13, v14
	v_fma_f16 v37, v25, s2, v12
	v_fma_f16 v12, v25, s3, v12
	s_waitcnt lgkmcnt(1)
	v_add_f16_e32 v25, v35, v13
	v_add_f16_e32 v13, v13, v14
	;; [unrolled: 1-line block ×3, first 2 shown]
	v_fma_f16 v13, v13, -0.5, v35
	v_sub_f16_e32 v14, v44, v27
	v_add_f16_e32 v11, v11, v27
	v_fma_f16 v27, v14, s3, v13
	v_fma_f16 v35, v14, s2, v13
	v_add_f16_e32 v14, v30, v22
	v_add_f16_e32 v13, v26, v30
	v_fma_f16 v14, v14, -0.5, v26
	v_sub_f16_e32 v26, v15, v16
	v_fma_f16 v40, v26, s2, v14
	v_fma_f16 v14, v26, s3, v14
	s_waitcnt lgkmcnt(0)
	v_add_f16_e32 v26, v39, v15
	v_add_f16_e32 v15, v15, v16
	;; [unrolled: 1-line block ×3, first 2 shown]
	v_fma_f16 v15, v15, -0.5, v39
	v_sub_f16_e32 v16, v30, v22
	v_fma_f16 v30, v16, s3, v15
	v_fma_f16 v39, v16, s2, v15
	v_add_f16_e32 v16, v28, v24
	v_add_f16_e32 v13, v13, v22
	v_fma_f16 v16, v16, -0.5, v32
	v_sub_f16_e32 v22, v17, v18
	v_add_f16_e32 v15, v32, v28
	v_fma_f16 v32, v22, s2, v16
	v_fma_f16 v16, v22, s3, v16
	v_add_f16_e32 v22, v38, v17
	v_add_f16_e32 v17, v17, v18
	;; [unrolled: 1-line block ×3, first 2 shown]
	v_fma_f16 v17, v17, -0.5, v38
	v_sub_f16_e32 v18, v28, v24
	v_add_f16_e32 v15, v15, v24
	v_fma_f16 v24, v18, s3, v17
	v_fma_f16 v28, v18, s2, v17
	v_mov_b32_e32 v17, 0xa20
	v_cndmask_b32_e32 v17, 0, v17, vcc
	v_add3_u32 v4, 0, v17, v4
	s_barrier
	ds_write_b16 v1, v29
	ds_write_b16 v1, v36 offset:864
	ds_write_b16 v1, v23 offset:1728
	ds_write_b16 v4, v11
	ds_write_b16 v4, v37 offset:864
	ds_write_b16 v4, v12 offset:1728
	v_mul_u32_u24_e32 v11, 0xa20, v19
	v_add3_u32 v23, 0, v11, v20
	v_lshl_add_u32 v29, v21, 1, 0
	ds_write_b16 v23, v13
	ds_write_b16 v23, v40 offset:864
	ds_write_b16 v23, v14 offset:1728
	;; [unrolled: 1-line block ×5, first 2 shown]
	s_waitcnt lgkmcnt(0)
	s_barrier
	ds_read_u16 v11, v1
	ds_read_u16 v14, v1 offset:648
	ds_read_u16 v17, v1 offset:1296
	;; [unrolled: 1-line block ×11, first 2 shown]
	s_waitcnt lgkmcnt(0)
	s_barrier
	ds_write_b16 v1, v34
	ds_write_b16 v1, v31 offset:864
	ds_write_b16 v1, v33 offset:1728
	ds_write_b16 v4, v25
	ds_write_b16 v4, v27 offset:864
	ds_write_b16 v4, v35 offset:1728
	;; [unrolled: 3-line block ×3, first 2 shown]
	ds_write_b16 v29, v41 offset:5184
	ds_write_b16 v29, v24 offset:6048
	;; [unrolled: 1-line block ×3, first 2 shown]
	s_waitcnt lgkmcnt(0)
	s_barrier
	s_and_saveexec_b64 s[4:5], s[0:1]
	s_cbranch_execz .LBB0_17
; %bb.16:
	v_lshlrev_b32_e32 v4, 1, v8
	v_lshlrev_b64 v[23:24], 2, v[4:5]
	v_mov_b32_e32 v29, s9
	v_add_co_u32_e32 v4, vcc, s8, v23
	v_addc_co_u32_e32 v24, vcc, v29, v24, vcc
	v_add_co_u32_e32 v23, vcc, 0x1000, v4
	v_lshlrev_b32_e32 v4, 1, v9
	v_lshlrev_b64 v[25:26], 2, v[4:5]
	v_addc_co_u32_e32 v24, vcc, 0, v24, vcc
	v_add_co_u32_e32 v4, vcc, s8, v25
	s_movk_i32 s0, 0x1000
	v_addc_co_u32_e32 v26, vcc, v29, v26, vcc
	v_add_co_u32_e32 v25, vcc, s0, v4
	global_load_dwordx2 v[23:24], v[23:24], off offset:1024
	v_addc_co_u32_e32 v26, vcc, 0, v26, vcc
	global_load_dwordx2 v[25:26], v[25:26], off offset:1024
	v_lshlrev_b32_e32 v4, 1, v10
	v_lshlrev_b64 v[27:28], 2, v[4:5]
	s_movk_i32 s1, 0x2000
	v_add_co_u32_e32 v4, vcc, s8, v27
	v_addc_co_u32_e32 v10, vcc, v29, v28, vcc
	v_add_co_u32_e32 v27, vcc, s0, v4
	v_addc_co_u32_e32 v28, vcc, 0, v10, vcc
	global_load_dwordx2 v[27:28], v[27:28], off offset:1024
	v_add_co_u32_e32 v6, vcc, s0, v6
	v_addc_co_u32_e32 v7, vcc, 0, v7, vcc
	global_load_dwordx2 v[6:7], v[6:7], off offset:1024
	ds_read_u16 v4, v1 offset:4536
	ds_read_u16 v10, v1 offset:3888
	;; [unrolled: 1-line block ×9, first 2 shown]
	v_add_co_u32_e32 v2, vcc, s12, v2
	s_waitcnt vmcnt(3)
	v_lshrrev_b32_e32 v35, 16, v23
	s_waitcnt lgkmcnt(8)
	v_mul_f16_e32 v37, v23, v4
	v_lshrrev_b32_e32 v36, 16, v24
	s_waitcnt lgkmcnt(1)
	v_mul_f16_e32 v39, v24, v34
	s_waitcnt vmcnt(2)
	v_lshrrev_b32_e32 v40, 16, v25
	v_lshrrev_b32_e32 v41, 16, v26
	v_mul_f16_e32 v4, v35, v4
	v_fma_f16 v35, v21, v35, v37
	v_mul_f16_e32 v37, v25, v10
	v_mul_f16_e32 v34, v36, v34
	v_fma_f16 v36, v22, v36, v39
	ds_read_u16 v39, v1 offset:5832
	v_mul_f16_e32 v10, v40, v10
	v_fma_f16 v37, v19, v40, v37
	s_waitcnt lgkmcnt(1)
	v_mul_f16_e32 v40, v26, v38
	v_mul_f16_e32 v38, v41, v38
	v_fma_f16 v4, v21, v23, -v4
	v_fma_f16 v21, v22, v24, -v34
	v_add_f16_e32 v22, v35, v36
	v_fma_f16 v10, v19, v25, -v10
	v_fma_f16 v19, v20, v26, -v38
	v_fma_f16 v40, v20, v41, v40
	v_sub_f16_e32 v23, v35, v36
	v_add_f16_e32 v24, v35, v31
	v_sub_f16_e32 v26, v4, v21
	v_fma_f16 v22, v22, -0.5, v31
	v_add_f16_e32 v31, v4, v21
	v_add_f16_e32 v4, v18, v4
	;; [unrolled: 1-line block ×3, first 2 shown]
	v_sub_f16_e32 v25, v37, v40
	v_fma_f16 v18, v31, -0.5, v18
	v_add_f16_e32 v21, v4, v21
	v_fma_f16 v4, v35, -0.5, v17
	v_add_f16_e32 v20, v37, v40
	v_fma_f16 v31, v23, s3, v18
	v_fma_f16 v18, v23, s2, v18
	;; [unrolled: 1-line block ×4, first 2 shown]
	v_add_f16_e32 v4, v37, v32
	v_fma_f16 v20, v20, -0.5, v32
	v_add_f16_e32 v32, v40, v4
	v_add_f16_e32 v4, v17, v10
	v_sub_f16_e32 v34, v10, v19
	v_add_f16_e32 v10, v4, v19
	s_waitcnt vmcnt(1)
	v_lshrrev_b32_e32 v4, 16, v27
	v_mul_f16_e32 v19, v4, v29
	v_add_f16_e32 v24, v36, v24
	v_fma_f16 v36, v26, s2, v22
	v_fma_f16 v22, v26, s3, v22
	;; [unrolled: 1-line block ×4, first 2 shown]
	ds_read_u16 v34, v1 offset:5184
	v_lshrrev_b32_e32 v17, 16, v28
	v_fma_f16 v19, v15, v27, -v19
	v_mul_f16_e32 v27, v27, v29
	s_waitcnt lgkmcnt(1)
	v_mul_f16_e32 v35, v17, v39
	v_fma_f16 v4, v15, v4, v27
	v_mul_f16_e32 v15, v28, v39
	v_fma_f16 v35, v16, v28, -v35
	v_fma_f16 v15, v16, v17, v15
	v_add_f16_e32 v16, v4, v15
	v_add_f16_e32 v27, v19, v35
	v_sub_f16_e32 v28, v4, v15
	v_add_f16_e32 v4, v4, v33
	v_sub_f16_e32 v37, v19, v35
	ds_read_u16 v1, v1
	v_fma_f16 v27, v27, -0.5, v14
	v_add_f16_e32 v4, v15, v4
	v_add_f16_e32 v14, v14, v19
	s_waitcnt vmcnt(0)
	v_lshrrev_b32_e32 v15, 16, v6
	v_lshrrev_b32_e32 v19, 16, v7
	v_fma_f16 v16, v16, -0.5, v33
	v_fma_f16 v29, v28, s3, v27
	v_fma_f16 v27, v28, s2, v27
	v_mul_f16_e32 v28, v15, v30
	s_waitcnt lgkmcnt(1)
	v_mul_f16_e32 v33, v19, v34
	v_fma_f16 v28, v12, v6, -v28
	v_fma_f16 v33, v13, v7, -v33
	v_mul_f16_e32 v6, v6, v30
	v_mul_f16_e32 v7, v7, v34
	v_fma_f16 v6, v12, v15, v6
	v_fma_f16 v7, v13, v19, v7
	v_add_f16_e32 v12, v6, v7
	s_waitcnt lgkmcnt(0)
	v_fma_f16 v12, v12, -0.5, v1
	v_add_f16_e32 v1, v6, v1
	v_sub_f16_e32 v19, v6, v7
	v_add_f16_e32 v6, v7, v1
	v_add_f16_e32 v1, v11, v28
	v_add_f16_e32 v15, v28, v33
	v_add_f16_e32 v7, v1, v33
	v_mov_b32_e32 v1, v5
	v_fma_f16 v15, v15, -0.5, v11
	v_mov_b32_e32 v11, s13
	v_lshlrev_b64 v[0:1], 2, v[0:1]
	v_addc_co_u32_e32 v3, vcc, v11, v3, vcc
	v_add_co_u32_e32 v0, vcc, v2, v0
	v_add_f16_e32 v14, v14, v35
	v_sub_f16_e32 v35, v28, v33
	v_addc_co_u32_e32 v1, vcc, v3, v1, vcc
	v_pack_b32_f16 v2, v7, v6
	v_fma_f16 v13, v35, s2, v12
	v_fma_f16 v30, v19, s3, v15
	;; [unrolled: 1-line block ×4, first 2 shown]
	global_store_dword v[0:1], v2, off
	v_add_co_u32_e32 v2, vcc, s0, v0
	v_pack_b32_f16 v6, v15, v12
	v_addc_co_u32_e32 v3, vcc, 0, v1, vcc
	global_store_dword v[2:3], v6, off offset:1088
	v_add_co_u32_e32 v6, vcc, s1, v0
	s_mov_b32 s1, 0xca4587e7
	v_mul_hi_u32 v9, v9, s1
	v_fma_f16 v17, v37, s2, v16
	v_fma_f16 v16, v37, s3, v16
	v_pack_b32_f16 v4, v14, v4
	global_store_dword v[0:1], v4, off offset:1296
	v_pack_b32_f16 v4, v27, v16
	v_addc_co_u32_e32 v7, vcc, 0, v1, vcc
	global_store_dword v[2:3], v4, off offset:2384
	v_pack_b32_f16 v2, v29, v17
	global_store_dword v[6:7], v2, off offset:3472
	v_lshrrev_b32_e32 v2, 10, v9
	v_mul_u32_u24_e32 v4, 0xa20, v2
	v_lshlrev_b64 v[2:3], 2, v[4:5]
	v_pack_b32_f16 v11, v30, v13
	v_add_co_u32_e32 v2, vcc, v0, v2
	v_addc_co_u32_e32 v3, vcc, v1, v3, vcc
	global_store_dword v[6:7], v11, off offset:2176
	v_pack_b32_f16 v4, v10, v32
	v_add_co_u32_e32 v6, vcc, s0, v2
	global_store_dword v[2:3], v4, off offset:2592
	v_pack_b32_f16 v4, v25, v20
	v_addc_co_u32_e32 v7, vcc, 0, v3, vcc
	global_store_dword v[6:7], v4, off offset:3680
	v_mul_hi_u32 v6, v8, s1
	s_movk_i32 s0, 0x3000
	v_add_co_u32_e32 v2, vcc, s0, v2
	v_pack_b32_f16 v4, v23, v26
	v_addc_co_u32_e32 v3, vcc, 0, v3, vcc
	global_store_dword v[2:3], v4, off offset:672
	v_lshrrev_b32_e32 v2, 10, v6
	v_mul_u32_u24_e32 v4, 0xa20, v2
	v_lshlrev_b64 v[2:3], 2, v[4:5]
	v_pack_b32_f16 v4, v18, v22
	v_add_co_u32_e32 v0, vcc, v0, v2
	v_addc_co_u32_e32 v1, vcc, v1, v3, vcc
	v_pack_b32_f16 v2, v21, v24
	global_store_dword v[0:1], v2, off offset:3888
	v_add_co_u32_e32 v2, vcc, 0x2000, v0
	v_addc_co_u32_e32 v3, vcc, 0, v1, vcc
	v_add_co_u32_e32 v0, vcc, 0x3000, v0
	global_store_dword v[2:3], v4, off offset:880
	v_pack_b32_f16 v2, v31, v36
	v_addc_co_u32_e32 v1, vcc, 0, v1, vcc
	global_store_dword v[0:1], v2, off offset:1968
.LBB0_17:
	s_endpgm
	.section	.rodata,"a",@progbits
	.p2align	6, 0x0
	.amdhsa_kernel fft_rtc_fwd_len3888_factors_16_3_3_3_3_3_wgs_324_tpt_324_halfLds_half_ip_CI_unitstride_sbrr_dirReg
		.amdhsa_group_segment_fixed_size 0
		.amdhsa_private_segment_fixed_size 0
		.amdhsa_kernarg_size 88
		.amdhsa_user_sgpr_count 6
		.amdhsa_user_sgpr_private_segment_buffer 1
		.amdhsa_user_sgpr_dispatch_ptr 0
		.amdhsa_user_sgpr_queue_ptr 0
		.amdhsa_user_sgpr_kernarg_segment_ptr 1
		.amdhsa_user_sgpr_dispatch_id 0
		.amdhsa_user_sgpr_flat_scratch_init 0
		.amdhsa_user_sgpr_private_segment_size 0
		.amdhsa_uses_dynamic_stack 0
		.amdhsa_system_sgpr_private_segment_wavefront_offset 0
		.amdhsa_system_sgpr_workgroup_id_x 1
		.amdhsa_system_sgpr_workgroup_id_y 0
		.amdhsa_system_sgpr_workgroup_id_z 0
		.amdhsa_system_sgpr_workgroup_info 0
		.amdhsa_system_vgpr_workitem_id 0
		.amdhsa_next_free_vgpr 45
		.amdhsa_next_free_sgpr 22
		.amdhsa_reserve_vcc 1
		.amdhsa_reserve_flat_scratch 0
		.amdhsa_float_round_mode_32 0
		.amdhsa_float_round_mode_16_64 0
		.amdhsa_float_denorm_mode_32 3
		.amdhsa_float_denorm_mode_16_64 3
		.amdhsa_dx10_clamp 1
		.amdhsa_ieee_mode 1
		.amdhsa_fp16_overflow 0
		.amdhsa_exception_fp_ieee_invalid_op 0
		.amdhsa_exception_fp_denorm_src 0
		.amdhsa_exception_fp_ieee_div_zero 0
		.amdhsa_exception_fp_ieee_overflow 0
		.amdhsa_exception_fp_ieee_underflow 0
		.amdhsa_exception_fp_ieee_inexact 0
		.amdhsa_exception_int_div_zero 0
	.end_amdhsa_kernel
	.text
.Lfunc_end0:
	.size	fft_rtc_fwd_len3888_factors_16_3_3_3_3_3_wgs_324_tpt_324_halfLds_half_ip_CI_unitstride_sbrr_dirReg, .Lfunc_end0-fft_rtc_fwd_len3888_factors_16_3_3_3_3_3_wgs_324_tpt_324_halfLds_half_ip_CI_unitstride_sbrr_dirReg
                                        ; -- End function
	.section	.AMDGPU.csdata,"",@progbits
; Kernel info:
; codeLenInByte = 9080
; NumSgprs: 26
; NumVgprs: 45
; ScratchSize: 0
; MemoryBound: 0
; FloatMode: 240
; IeeeMode: 1
; LDSByteSize: 0 bytes/workgroup (compile time only)
; SGPRBlocks: 3
; VGPRBlocks: 11
; NumSGPRsForWavesPerEU: 26
; NumVGPRsForWavesPerEU: 45
; Occupancy: 5
; WaveLimiterHint : 1
; COMPUTE_PGM_RSRC2:SCRATCH_EN: 0
; COMPUTE_PGM_RSRC2:USER_SGPR: 6
; COMPUTE_PGM_RSRC2:TRAP_HANDLER: 0
; COMPUTE_PGM_RSRC2:TGID_X_EN: 1
; COMPUTE_PGM_RSRC2:TGID_Y_EN: 0
; COMPUTE_PGM_RSRC2:TGID_Z_EN: 0
; COMPUTE_PGM_RSRC2:TIDIG_COMP_CNT: 0
	.type	__hip_cuid_8cd23050e0135b15,@object ; @__hip_cuid_8cd23050e0135b15
	.section	.bss,"aw",@nobits
	.globl	__hip_cuid_8cd23050e0135b15
__hip_cuid_8cd23050e0135b15:
	.byte	0                               ; 0x0
	.size	__hip_cuid_8cd23050e0135b15, 1

	.ident	"AMD clang version 19.0.0git (https://github.com/RadeonOpenCompute/llvm-project roc-6.4.0 25133 c7fe45cf4b819c5991fe208aaa96edf142730f1d)"
	.section	".note.GNU-stack","",@progbits
	.addrsig
	.addrsig_sym __hip_cuid_8cd23050e0135b15
	.amdgpu_metadata
---
amdhsa.kernels:
  - .args:
      - .actual_access:  read_only
        .address_space:  global
        .offset:         0
        .size:           8
        .value_kind:     global_buffer
      - .offset:         8
        .size:           8
        .value_kind:     by_value
      - .actual_access:  read_only
        .address_space:  global
        .offset:         16
        .size:           8
        .value_kind:     global_buffer
      - .actual_access:  read_only
        .address_space:  global
        .offset:         24
        .size:           8
        .value_kind:     global_buffer
      - .offset:         32
        .size:           8
        .value_kind:     by_value
      - .actual_access:  read_only
        .address_space:  global
        .offset:         40
        .size:           8
        .value_kind:     global_buffer
      - .actual_access:  read_only
        .address_space:  global
        .offset:         48
        .size:           8
        .value_kind:     global_buffer
      - .offset:         56
        .size:           4
        .value_kind:     by_value
      - .actual_access:  read_only
        .address_space:  global
        .offset:         64
        .size:           8
        .value_kind:     global_buffer
      - .actual_access:  read_only
        .address_space:  global
        .offset:         72
        .size:           8
        .value_kind:     global_buffer
      - .address_space:  global
        .offset:         80
        .size:           8
        .value_kind:     global_buffer
    .group_segment_fixed_size: 0
    .kernarg_segment_align: 8
    .kernarg_segment_size: 88
    .language:       OpenCL C
    .language_version:
      - 2
      - 0
    .max_flat_workgroup_size: 324
    .name:           fft_rtc_fwd_len3888_factors_16_3_3_3_3_3_wgs_324_tpt_324_halfLds_half_ip_CI_unitstride_sbrr_dirReg
    .private_segment_fixed_size: 0
    .sgpr_count:     26
    .sgpr_spill_count: 0
    .symbol:         fft_rtc_fwd_len3888_factors_16_3_3_3_3_3_wgs_324_tpt_324_halfLds_half_ip_CI_unitstride_sbrr_dirReg.kd
    .uniform_work_group_size: 1
    .uses_dynamic_stack: false
    .vgpr_count:     45
    .vgpr_spill_count: 0
    .wavefront_size: 64
amdhsa.target:   amdgcn-amd-amdhsa--gfx906
amdhsa.version:
  - 1
  - 2
...

	.end_amdgpu_metadata
